;; amdgpu-corpus repo=ROCm/rocFFT kind=compiled arch=gfx1030 opt=O3
	.text
	.amdgcn_target "amdgcn-amd-amdhsa--gfx1030"
	.amdhsa_code_object_version 6
	.protected	fft_rtc_back_len100_factors_5_5_4_wgs_100_tpt_25_half_op_CI_CI_sbrc_xy_z_unaligned_dirReg ; -- Begin function fft_rtc_back_len100_factors_5_5_4_wgs_100_tpt_25_half_op_CI_CI_sbrc_xy_z_unaligned_dirReg
	.globl	fft_rtc_back_len100_factors_5_5_4_wgs_100_tpt_25_half_op_CI_CI_sbrc_xy_z_unaligned_dirReg
	.p2align	8
	.type	fft_rtc_back_len100_factors_5_5_4_wgs_100_tpt_25_half_op_CI_CI_sbrc_xy_z_unaligned_dirReg,@function
fft_rtc_back_len100_factors_5_5_4_wgs_100_tpt_25_half_op_CI_CI_sbrc_xy_z_unaligned_dirReg: ; @fft_rtc_back_len100_factors_5_5_4_wgs_100_tpt_25_half_op_CI_CI_sbrc_xy_z_unaligned_dirReg
; %bb.0:
	s_clause 0x1
	s_load_dwordx4 s[0:3], s[4:5], 0x10
	s_load_dwordx2 s[20:21], s[4:5], 0x20
	s_waitcnt lgkmcnt(0)
	s_load_dwordx4 s[8:11], s[0:1], 0x8
	s_clause 0x1
	s_load_dwordx4 s[12:15], s[2:3], 0x0
	s_load_dwordx2 s[16:17], s[2:3], 0x10
	s_waitcnt lgkmcnt(0)
	s_add_i32 s0, s10, -1
	s_lshr_b32 s0, s0, 2
	s_add_i32 s0, s0, 1
	s_mul_i32 s0, s0, s8
	v_cvt_f32_u32_e32 v1, s0
	s_sub_i32 s7, 0, s0
	v_rcp_iflag_f32_e32 v1, v1
	v_mul_f32_e32 v1, 0x4f7ffffe, v1
	v_cvt_u32_f32_e32 v1, v1
	v_readfirstlane_b32 s1, v1
	v_cvt_f32_u32_e32 v1, s8
	s_mul_i32 s7, s7, s1
	s_mul_hi_u32 s7, s1, s7
	s_add_i32 s1, s1, s7
	s_mul_hi_u32 s1, s6, s1
	s_mul_i32 s7, s1, s0
	s_add_i32 s11, s1, 1
	s_sub_i32 s7, s6, s7
	s_sub_i32 s15, s7, s0
	s_cmp_ge_u32 s7, s0
	s_cselect_b32 s1, s11, s1
	s_cselect_b32 s7, s15, s7
	s_add_i32 s11, s1, 1
	s_cmp_ge_u32 s7, s0
	s_mov_b32 s7, 0
	s_cselect_b32 s11, s11, s1
	s_mov_b32 s19, s7
	s_mul_i32 s0, s11, s0
	s_sub_i32 s18, s6, s0
	v_cmp_lt_u64_e64 s0, s[18:19], s[8:9]
	s_and_b32 vcc_lo, exec_lo, s0
	s_mov_b64 s[0:1], 0
	s_cbranch_vccnz .LBB0_2
; %bb.1:
	v_rcp_iflag_f32_e32 v2, v1
	s_sub_i32 s1, 0, s8
	v_mul_f32_e32 v2, 0x4f7ffffe, v2
	v_cvt_u32_f32_e32 v2, v2
	v_readfirstlane_b32 s0, v2
	s_mul_i32 s1, s1, s0
	s_mul_hi_u32 s1, s0, s1
	s_add_i32 s0, s0, s1
	s_mul_hi_u32 s0, s18, s0
	s_mul_i32 s1, s0, s8
	s_add_i32 s15, s0, 1
	s_sub_i32 s1, s18, s1
	s_sub_i32 s17, s1, s8
	s_cmp_ge_u32 s1, s8
	s_cselect_b32 s0, s15, s0
	s_cselect_b32 s1, s17, s1
	s_add_i32 s15, s0, 1
	s_cmp_ge_u32 s1, s8
	s_cselect_b32 s0, s15, s0
.LBB0_2:
	s_load_dwordx2 s[18:19], s[4:5], 0x58
	v_cmp_lt_u64_e64 s1, s[6:7], s[8:9]
	s_and_b32 vcc_lo, exec_lo, s1
	s_cbranch_vccnz .LBB0_4
; %bb.3:
	v_rcp_iflag_f32_e32 v1, v1
	s_sub_i32 s7, 0, s8
	v_mul_f32_e32 v1, 0x4f7ffffe, v1
	v_cvt_u32_f32_e32 v1, v1
	v_readfirstlane_b32 s1, v1
	s_mul_i32 s7, s7, s1
	s_mul_hi_u32 s7, s1, s7
	s_add_i32 s1, s1, s7
	s_mul_hi_u32 s1, s6, s1
	s_mul_i32 s1, s1, s8
	s_sub_i32 s1, s6, s1
	s_sub_i32 s6, s1, s8
	s_cmp_ge_u32 s1, s8
	s_cselect_b32 s1, s6, s1
	s_sub_i32 s6, s1, s8
	s_cmp_ge_u32 s1, s8
	s_cselect_b32 s6, s6, s1
.LBB0_4:
	s_load_dwordx2 s[8:9], s[4:5], 0x8
	s_lshl_b32 s7, s0, 2
	s_mul_i32 s0, s6, s14
	s_mul_i32 s1, s7, s16
	v_mul_u32_u24_e32 v1, 0x290, v0
	s_add_i32 s17, s0, s1
	v_lshrrev_b32_e32 v3, 16, v1
	v_mul_lo_u16 v1, 0x64, v3
	v_sub_nc_u16 v1, v0, v1
	s_waitcnt lgkmcnt(0)
	s_lshl_b64 s[8:9], s[8:9], 3
	s_add_u32 s0, s2, s8
	s_addc_u32 s1, s3, s9
	v_and_b32_e32 v5, 0xffff, v1
	s_load_dwordx2 s[22:23], s[0:1], 0x0
	s_clause 0x1
	s_load_dwordx4 s[0:3], s[20:21], 0x0
	s_load_dwordx2 s[14:15], s[20:21], 0x10
	s_waitcnt lgkmcnt(0)
	s_mul_i32 s3, s23, s11
	s_mul_hi_u32 s15, s22, s11
	s_mul_i32 s22, s22, s11
	s_add_i32 s15, s15, s3
	s_add_u32 s22, s22, s17
	s_addc_u32 s23, s15, 0
	s_add_u32 s8, s20, s8
	s_addc_u32 s9, s21, s9
	s_add_i32 s3, s7, 4
	s_load_dwordx2 s[8:9], s[8:9], 0x0
	s_cmp_le_u32 s3, s10
	s_mov_b32 s15, -1
	s_cselect_b32 s3, -1, 0
	s_and_b32 vcc_lo, exec_lo, s3
	s_cbranch_vccnz .LBB0_9
; %bb.5:
	v_add_nc_u32_e32 v4, s7, v3
	s_mov_b32 s15, exec_lo
	v_cmpx_gt_u32_e64 s10, v4
	s_cbranch_execz .LBB0_8
; %bb.6:
	v_mad_u64_u32 v[1:2], null, s12, v5, 0
	s_lshl_b64 s[20:21], s[22:23], 2
	s_add_u32 s17, s18, s20
	s_addc_u32 s20, s19, s21
	v_mad_u64_u32 v[6:7], null, s13, v5, v[2:3]
	v_lshlrev_b32_e32 v7, 2, v3
	v_mov_b32_e32 v2, v6
	v_lshl_or_b32 v6, v5, 4, v7
	v_lshlrev_b64 v[7:8], 2, v[1:2]
	v_mul_lo_u32 v1, v3, s16
	v_add_nc_u32_e32 v6, 0, v6
	v_mov_b32_e32 v2, 0
	v_add_co_u32 v7, vcc_lo, s17, v7
	v_add_co_ci_u32_e32 v8, vcc_lo, s20, v8, vcc_lo
	s_mov_b32 s17, 0
	s_mov_b32 s20, 0
	.p2align	6
.LBB0_7:                                ; =>This Inner Loop Header: Depth=1
	v_lshlrev_b64 v[9:10], 2, v[1:2]
	s_add_i32 s20, s20, 1
	v_add_nc_u32_e32 v1, s16, v1
	v_add_co_u32 v9, vcc_lo, v7, v9
	v_add_co_ci_u32_e32 v10, vcc_lo, v8, v10, vcc_lo
	global_load_dword v9, v[9:10], off
	v_add_nc_u32_e32 v10, s20, v4
	v_cmp_le_u32_e32 vcc_lo, s10, v10
	s_or_b32 s17, vcc_lo, s17
	s_waitcnt vmcnt(0)
	ds_write_b32 v6, v9
	v_add_nc_u32_e32 v6, 4, v6
	s_andn2_b32 exec_lo, exec_lo, s17
	s_cbranch_execnz .LBB0_7
.LBB0_8:
	s_or_b32 exec_lo, exec_lo, s15
	s_mov_b32 s15, 0
.LBB0_9:
	s_andn2_b32 vcc_lo, exec_lo, s15
	s_cbranch_vccnz .LBB0_11
; %bb.10:
	v_mad_u64_u32 v[1:2], null, s12, v5, 0
	v_mul_lo_u32 v6, s16, v3
	v_mov_b32_e32 v7, 0
	v_mad_u64_u32 v[8:9], null, s13, v5, v[2:3]
	v_lshlrev_b64 v[9:10], 2, v[6:7]
	v_add_nc_u32_e32 v6, s16, v6
	s_lshl_b64 s[12:13], s[22:23], 2
	v_lshlrev_b32_e32 v3, 2, v3
	s_add_u32 s12, s18, s12
	s_addc_u32 s13, s19, s13
	v_mov_b32_e32 v2, v8
	v_lshlrev_b64 v[11:12], 2, v[6:7]
	v_add_nc_u32_e32 v6, s16, v6
	v_lshlrev_b64 v[1:2], 2, v[1:2]
	v_lshlrev_b64 v[13:14], 2, v[6:7]
	v_add_nc_u32_e32 v6, s16, v6
	v_add_co_u32 v4, vcc_lo, s12, v1
	v_add_co_ci_u32_e32 v15, vcc_lo, s13, v2, vcc_lo
	v_lshlrev_b64 v[1:2], 2, v[6:7]
	v_add_co_u32 v6, vcc_lo, v4, v9
	v_add_co_ci_u32_e32 v7, vcc_lo, v15, v10, vcc_lo
	v_add_co_u32 v8, vcc_lo, v4, v11
	v_add_co_ci_u32_e32 v9, vcc_lo, v15, v12, vcc_lo
	;; [unrolled: 2-line block ×4, first 2 shown]
	s_clause 0x3
	global_load_dword v4, v[6:7], off
	global_load_dword v6, v[8:9], off
	;; [unrolled: 1-line block ×4, first 2 shown]
	v_lshlrev_b32_e32 v2, 4, v5
	v_add3_u32 v2, 0, v2, v3
	s_waitcnt vmcnt(2)
	ds_write2_b32 v2, v4, v6 offset1:1
	s_waitcnt vmcnt(0)
	ds_write2_b32 v2, v7, v1 offset0:2 offset1:3
.LBB0_11:
	v_lshrrev_b32_e32 v8, 2, v0
	v_and_b32_e32 v6, 3, v0
	s_waitcnt lgkmcnt(0)
	s_barrier
	buffer_gl0_inv
	v_lshl_add_u32 v14, v8, 4, 0
	v_cmp_gt_u32_e32 vcc_lo, 0x50, v0
	v_lshl_add_u32 v7, v6, 2, v14
	ds_read2_b32 v[1:2], v7 offset1:80
	ds_read2_b32 v[11:12], v7 offset0:160 offset1:240
	ds_read_b32 v15, v7 offset:1280
	s_waitcnt lgkmcnt(0)
	s_barrier
	buffer_gl0_inv
	v_pk_add_f16 v3, v1, v2
	v_add_f16_e32 v4, v11, v12
	v_add_f16_e32 v19, v2, v15
	v_add_f16_sdwa v22, v11, v12 dst_sel:DWORD dst_unused:UNUSED_PAD src0_sel:WORD_1 src1_sel:WORD_1
	v_lshrrev_b32_e32 v9, 16, v1
	v_add_f16_sdwa v27, v2, v15 dst_sel:DWORD dst_unused:UNUSED_PAD src0_sel:WORD_1 src1_sel:WORD_1
	v_sub_f16_sdwa v16, v2, v15 dst_sel:DWORD dst_unused:UNUSED_PAD src0_sel:WORD_1 src1_sel:WORD_1
	v_sub_f16_sdwa v17, v11, v12 dst_sel:DWORD dst_unused:UNUSED_PAD src0_sel:WORD_1 src1_sel:WORD_1
	v_sub_f16_e32 v13, v15, v12
	v_sub_f16_e32 v18, v2, v11
	;; [unrolled: 1-line block ×6, first 2 shown]
	v_sub_f16_sdwa v25, v2, v11 dst_sel:DWORD dst_unused:UNUSED_PAD src0_sel:WORD_1 src1_sel:WORD_1
	v_sub_f16_sdwa v28, v11, v2 dst_sel:DWORD dst_unused:UNUSED_PAD src0_sel:WORD_1 src1_sel:WORD_1
	v_pk_add_f16 v2, v3, v11
	v_fma_f16 v10, -0.5, v4, v1
	v_fma_f16 v4, -0.5, v19, v1
	;; [unrolled: 1-line block ×3, first 2 shown]
	v_fmac_f16_e32 v9, -0.5, v27
	v_sub_f16_sdwa v26, v15, v12 dst_sel:DWORD dst_unused:UNUSED_PAD src0_sel:WORD_1 src1_sel:WORD_1
	v_sub_f16_sdwa v29, v12, v15 dst_sel:DWORD dst_unused:UNUSED_PAD src0_sel:WORD_1 src1_sel:WORD_1
	v_add_f16_e32 v18, v18, v13
	v_add_f16_e32 v1, v21, v20
	v_pk_add_f16 v20, v2, v12
	v_fmamk_f16 v2, v16, 0xbb9c, v10
	v_fmac_f16_e32 v10, 0x3b9c, v16
	v_fmamk_f16 v3, v17, 0x3b9c, v4
	v_fmac_f16_e32 v4, 0xbb9c, v17
	;; [unrolled: 2-line block ×4, first 2 shown]
	v_add_f16_e32 v19, v25, v26
	v_fmac_f16_e32 v2, 0xb8b4, v17
	v_fmac_f16_e32 v10, 0x38b4, v17
	;; [unrolled: 1-line block ×7, first 2 shown]
	v_add_f16_e32 v16, v28, v29
	v_fmac_f16_e32 v9, 0xb8b4, v23
	v_fmac_f16_e32 v2, 0x34f2, v18
	;; [unrolled: 1-line block ×5, first 2 shown]
	v_pk_add_f16 v1, v20, v15
	v_fmac_f16_e32 v12, 0x34f2, v19
	v_fmac_f16_e32 v11, 0x34f2, v19
	;; [unrolled: 1-line block ×4, first 2 shown]
	v_lshlrev_b32_e32 v15, 2, v6
	s_and_saveexec_b32 s12, vcc_lo
	s_cbranch_execz .LBB0_13
; %bb.12:
	v_lshlrev_b32_e32 v16, 6, v8
	v_perm_b32 v17, v12, v2, 0x5040100
	v_perm_b32 v18, v13, v3, 0x5040100
	;; [unrolled: 1-line block ×3, first 2 shown]
	v_add3_u32 v14, v14, v16, v15
	v_perm_b32 v16, v9, v4, 0x5040100
	ds_write2_b32 v14, v1, v17 offset1:4
	ds_write2_b32 v14, v18, v16 offset0:8 offset1:12
	ds_write_b32 v14, v19 offset:64
.LBB0_13:
	s_or_b32 exec_lo, exec_lo, s12
	s_load_dwordx2 s[12:13], s[4:5], 0x0
	v_lshrrev_b32_e32 v14, 16, v1
	s_waitcnt lgkmcnt(0)
	s_barrier
	buffer_gl0_inv
	s_and_saveexec_b32 s15, vcc_lo
	s_cbranch_execz .LBB0_15
; %bb.14:
	ds_read2_b32 v[1:2], v7 offset1:80
	ds_read2_b32 v[3:4], v7 offset0:160 offset1:240
	ds_read_b32 v10, v7 offset:1280
	ds_read_u16 v14, v7 offset:2
	s_waitcnt lgkmcnt(3)
	v_lshrrev_b32_e32 v12, 16, v2
	s_waitcnt lgkmcnt(2)
	v_lshrrev_b32_e32 v13, 16, v3
	v_lshrrev_b32_e32 v9, 16, v4
	s_waitcnt lgkmcnt(1)
	v_lshrrev_b32_e32 v11, 16, v10
.LBB0_15:
	s_or_b32 exec_lo, exec_lo, s15
	s_waitcnt lgkmcnt(0)
	s_barrier
	buffer_gl0_inv
	s_and_saveexec_b32 s15, vcc_lo
	s_cbranch_execz .LBB0_17
; %bb.16:
	v_mul_hi_u32 v16, 0x33333334, v8
	v_lshrrev_b16 v21, 2, v0
	v_mul_lo_u16 v21, v21, 52
	v_mul_u32_u24_e32 v16, 5, v16
	v_lshrrev_b16 v21, 8, v21
	v_sub_nc_u32_e32 v20, v8, v16
	v_mul_lo_u16 v21, v21, 25
	v_lshlrev_b32_e32 v16, 4, v20
	v_and_b32_e32 v21, 0xffff, v21
	global_load_dwordx4 v[16:19], v16, s[12:13]
	v_add_lshl_u32 v20, v20, v21, 4
	v_add3_u32 v15, 0, v20, v15
	s_waitcnt vmcnt(0)
	v_mul_f16_sdwa v20, v3, v17 dst_sel:DWORD dst_unused:UNUSED_PAD src0_sel:DWORD src1_sel:WORD_1
	v_mul_f16_sdwa v21, v2, v16 dst_sel:DWORD dst_unused:UNUSED_PAD src0_sel:DWORD src1_sel:WORD_1
	;; [unrolled: 1-line block ×8, first 2 shown]
	v_fma_f16 v13, v13, v17, -v20
	v_fma_f16 v12, v12, v16, -v21
	;; [unrolled: 1-line block ×4, first 2 shown]
	v_fmac_f16_e32 v24, v3, v17
	v_fmac_f16_e32 v25, v4, v18
	;; [unrolled: 1-line block ×4, first 2 shown]
	v_sub_f16_e32 v2, v13, v12
	v_sub_f16_e32 v3, v9, v11
	v_add_f16_e32 v10, v12, v11
	v_sub_f16_e32 v17, v24, v26
	v_sub_f16_e32 v18, v25, v27
	v_add_f16_e32 v20, v26, v27
	v_add_f16_e32 v28, v13, v9
	;; [unrolled: 1-line block ×3, first 2 shown]
	v_sub_f16_e32 v16, v26, v27
	v_sub_f16_e32 v19, v12, v11
	;; [unrolled: 1-line block ×4, first 2 shown]
	v_add_f16_e32 v12, v14, v12
	v_add_f16_e32 v26, v1, v26
	;; [unrolled: 1-line block ×3, first 2 shown]
	v_fma_f16 v3, -0.5, v10, v14
	v_add_f16_e32 v10, v17, v18
	v_fma_f16 v17, -0.5, v20, v1
	v_fma_f16 v14, -0.5, v28, v14
	;; [unrolled: 1-line block ×3, first 2 shown]
	v_sub_f16_e32 v4, v24, v25
	v_sub_f16_e32 v21, v13, v9
	;; [unrolled: 1-line block ×4, first 2 shown]
	v_add_f16_e32 v12, v12, v13
	v_add_f16_e32 v13, v26, v24
	v_fmamk_f16 v24, v16, 0x3b9c, v14
	v_fmamk_f16 v26, v19, 0xbb9c, v1
	v_add_f16_e32 v18, v22, v23
	v_fmamk_f16 v22, v4, 0x3b9c, v3
	v_fmamk_f16 v23, v21, 0xbb9c, v17
	v_fmac_f16_e32 v3, 0xbb9c, v4
	v_fmac_f16_e32 v17, 0x3b9c, v21
	;; [unrolled: 1-line block ×4, first 2 shown]
	v_add_f16_e32 v20, v29, v30
	v_add_f16_e32 v9, v12, v9
	;; [unrolled: 1-line block ×3, first 2 shown]
	v_fmac_f16_e32 v24, 0x38b4, v4
	v_fmac_f16_e32 v26, 0xb8b4, v21
	;; [unrolled: 1-line block ×8, first 2 shown]
	v_add_f16_e32 v9, v9, v11
	v_add_f16_e32 v11, v12, v27
	v_fmac_f16_e32 v24, 0x34f2, v18
	v_fmac_f16_e32 v26, 0x34f2, v20
	;; [unrolled: 1-line block ×8, first 2 shown]
	v_pack_b32_f16 v2, v11, v9
	v_pack_b32_f16 v4, v26, v24
	;; [unrolled: 1-line block ×5, first 2 shown]
	ds_write2_b32 v15, v2, v4 offset1:20
	ds_write2_b32 v15, v3, v9 offset0:40 offset1:60
	ds_write_b32 v15, v1 offset:320
.LBB0_17:
	s_or_b32 exec_lo, exec_lo, s15
	v_or_b32_e32 v1, s7, v6
	s_waitcnt lgkmcnt(0)
	s_barrier
	buffer_gl0_inv
	v_cmp_gt_u32_e32 vcc_lo, s10, v1
	s_or_b32 s3, s3, vcc_lo
	s_and_saveexec_b32 s10, s3
	s_cbranch_execz .LBB0_19
; %bb.18:
	v_mul_hi_u32 v1, 0xa3d70a4, v8
	v_add_nc_u32_e32 v4, 0x200, v7
	v_mad_u64_u32 v[10:11], null, s0, v6, 0
	s_load_dwordx2 s[4:5], s[4:5], 0x60
	v_sub_nc_u32_e32 v0, v0, v5
	ds_read2_b32 v[12:13], v4 offset0:72 offset1:172
	v_mov_b32_e32 v5, 0
	v_mul_u32_u24_e32 v1, 25, v1
	s_mul_i32 s3, s1, s7
	v_mov_b32_e32 v4, v11
	s_mul_hi_u32 s10, s0, s7
	s_mul_i32 s0, s0, s7
	v_sub_nc_u32_e32 v14, v8, v1
	ds_read2_b32 v[8:9], v7 offset1:100
	v_mad_u64_u32 v[6:7], null, s1, v6, v[4:5]
	s_add_i32 s1, s10, s3
	v_mul_u32_u24_e32 v1, 3, v14
	v_add_nc_u32_e32 v0, v0, v14
	s_mul_i32 s7, s9, s11
	s_mul_hi_u32 s9, s8, s11
	s_lshl_b64 s[0:1], s[0:1], 2
	v_lshlrev_b32_e32 v1, 2, v1
	v_mov_b32_e32 v11, v6
	v_mul_lo_u32 v4, v0, s2
	s_waitcnt lgkmcnt(0)
	v_lshrrev_b32_e32 v0, 16, v12
	v_lshrrev_b32_e32 v18, 16, v13
	global_load_dwordx3 v[1:3], v1, s[12:13] offset:80
	s_mul_i32 s12, s6, s14
	s_mov_b32 s13, 0
	s_add_i32 s7, s9, s7
	s_add_u32 s3, s4, s0
	s_addc_u32 s4, s5, s1
	v_lshrrev_b32_e32 v17, 16, v9
	s_lshl_b64 s[0:1], s[12:13], 2
	s_mul_i32 s6, s8, s11
	v_lshlrev_b64 v[6:7], 2, v[10:11]
	s_mul_i32 s8, s2, 25
	s_add_u32 s2, s3, s0
	s_addc_u32 s3, s4, s1
	s_lshl_b64 s[0:1], s[6:7], 2
	v_lshlrev_b64 v[10:11], 2, v[4:5]
	v_add_nc_u32_e32 v4, s8, v4
	s_add_u32 s0, s2, s0
	v_lshrrev_b32_e32 v16, 16, v8
	s_addc_u32 s1, s3, s1
	v_add_co_u32 v19, vcc_lo, s0, v6
	v_add_co_ci_u32_e32 v20, vcc_lo, s1, v7, vcc_lo
	v_lshlrev_b64 v[6:7], 2, v[4:5]
	v_add_co_u32 v10, vcc_lo, v19, v10
	v_add_co_ci_u32_e32 v11, vcc_lo, v20, v11, vcc_lo
	v_add_nc_u32_e32 v4, s8, v4
	v_lshlrev_b64 v[14:15], 2, v[4:5]
	v_add_nc_u32_e32 v4, s8, v4
	s_waitcnt vmcnt(0)
	v_mul_f16_sdwa v21, v2, v12 dst_sel:DWORD dst_unused:UNUSED_PAD src0_sel:WORD_1 src1_sel:DWORD
	v_mul_f16_sdwa v22, v1, v17 dst_sel:DWORD dst_unused:UNUSED_PAD src0_sel:WORD_1 src1_sel:DWORD
	;; [unrolled: 1-line block ×6, first 2 shown]
	v_fma_f16 v0, v2, v0, -v21
	v_fmac_f16_e32 v22, v1, v9
	v_fmac_f16_e32 v23, v3, v13
	;; [unrolled: 1-line block ×3, first 2 shown]
	v_fma_f16 v2, v1, v17, -v25
	v_fma_f16 v1, v3, v18, -v26
	v_sub_f16_e32 v9, v16, v0
	v_sub_f16_e32 v12, v22, v23
	;; [unrolled: 1-line block ×3, first 2 shown]
	v_add_co_u32 v0, vcc_lo, v19, v6
	v_sub_f16_e32 v17, v2, v1
	v_add_co_ci_u32_e32 v1, vcc_lo, v20, v7, vcc_lo
	v_fma_f16 v6, v16, 2.0, -v9
	v_fma_f16 v8, v8, 2.0, -v13
	;; [unrolled: 1-line block ×4, first 2 shown]
	v_sub_f16_e32 v12, v9, v12
	v_add_f16_e32 v17, v13, v17
	v_lshlrev_b64 v[2:3], 2, v[4:5]
	v_sub_f16_e32 v7, v6, v7
	v_sub_f16_e32 v16, v8, v16
	v_fma_f16 v9, v9, 2.0, -v12
	v_fma_f16 v13, v13, 2.0, -v17
	v_add_co_u32 v4, vcc_lo, v19, v14
	v_fma_f16 v6, v6, 2.0, -v7
	v_fma_f16 v8, v8, 2.0, -v16
	v_add_co_ci_u32_e32 v5, vcc_lo, v20, v15, vcc_lo
	v_add_co_u32 v2, vcc_lo, v19, v2
	v_pack_b32_f16 v6, v8, v6
	v_pack_b32_f16 v8, v13, v9
	;; [unrolled: 1-line block ×3, first 2 shown]
	v_add_co_ci_u32_e32 v3, vcc_lo, v20, v3, vcc_lo
	v_pack_b32_f16 v9, v17, v12
	global_store_dword v[10:11], v6, off
	global_store_dword v[0:1], v8, off
	;; [unrolled: 1-line block ×4, first 2 shown]
.LBB0_19:
	s_endpgm
	.section	.rodata,"a",@progbits
	.p2align	6, 0x0
	.amdhsa_kernel fft_rtc_back_len100_factors_5_5_4_wgs_100_tpt_25_half_op_CI_CI_sbrc_xy_z_unaligned_dirReg
		.amdhsa_group_segment_fixed_size 0
		.amdhsa_private_segment_fixed_size 0
		.amdhsa_kernarg_size 104
		.amdhsa_user_sgpr_count 6
		.amdhsa_user_sgpr_private_segment_buffer 1
		.amdhsa_user_sgpr_dispatch_ptr 0
		.amdhsa_user_sgpr_queue_ptr 0
		.amdhsa_user_sgpr_kernarg_segment_ptr 1
		.amdhsa_user_sgpr_dispatch_id 0
		.amdhsa_user_sgpr_flat_scratch_init 0
		.amdhsa_user_sgpr_private_segment_size 0
		.amdhsa_wavefront_size32 1
		.amdhsa_uses_dynamic_stack 0
		.amdhsa_system_sgpr_private_segment_wavefront_offset 0
		.amdhsa_system_sgpr_workgroup_id_x 1
		.amdhsa_system_sgpr_workgroup_id_y 0
		.amdhsa_system_sgpr_workgroup_id_z 0
		.amdhsa_system_sgpr_workgroup_info 0
		.amdhsa_system_vgpr_workitem_id 0
		.amdhsa_next_free_vgpr 32
		.amdhsa_next_free_sgpr 24
		.amdhsa_reserve_vcc 1
		.amdhsa_reserve_flat_scratch 0
		.amdhsa_float_round_mode_32 0
		.amdhsa_float_round_mode_16_64 0
		.amdhsa_float_denorm_mode_32 3
		.amdhsa_float_denorm_mode_16_64 3
		.amdhsa_dx10_clamp 1
		.amdhsa_ieee_mode 1
		.amdhsa_fp16_overflow 0
		.amdhsa_workgroup_processor_mode 1
		.amdhsa_memory_ordered 1
		.amdhsa_forward_progress 0
		.amdhsa_shared_vgpr_count 0
		.amdhsa_exception_fp_ieee_invalid_op 0
		.amdhsa_exception_fp_denorm_src 0
		.amdhsa_exception_fp_ieee_div_zero 0
		.amdhsa_exception_fp_ieee_overflow 0
		.amdhsa_exception_fp_ieee_underflow 0
		.amdhsa_exception_fp_ieee_inexact 0
		.amdhsa_exception_int_div_zero 0
	.end_amdhsa_kernel
	.text
.Lfunc_end0:
	.size	fft_rtc_back_len100_factors_5_5_4_wgs_100_tpt_25_half_op_CI_CI_sbrc_xy_z_unaligned_dirReg, .Lfunc_end0-fft_rtc_back_len100_factors_5_5_4_wgs_100_tpt_25_half_op_CI_CI_sbrc_xy_z_unaligned_dirReg
                                        ; -- End function
	.section	.AMDGPU.csdata,"",@progbits
; Kernel info:
; codeLenInByte = 2876
; NumSgprs: 26
; NumVgprs: 32
; ScratchSize: 0
; MemoryBound: 0
; FloatMode: 240
; IeeeMode: 1
; LDSByteSize: 0 bytes/workgroup (compile time only)
; SGPRBlocks: 3
; VGPRBlocks: 3
; NumSGPRsForWavesPerEU: 26
; NumVGPRsForWavesPerEU: 32
; Occupancy: 16
; WaveLimiterHint : 1
; COMPUTE_PGM_RSRC2:SCRATCH_EN: 0
; COMPUTE_PGM_RSRC2:USER_SGPR: 6
; COMPUTE_PGM_RSRC2:TRAP_HANDLER: 0
; COMPUTE_PGM_RSRC2:TGID_X_EN: 1
; COMPUTE_PGM_RSRC2:TGID_Y_EN: 0
; COMPUTE_PGM_RSRC2:TGID_Z_EN: 0
; COMPUTE_PGM_RSRC2:TIDIG_COMP_CNT: 0
	.text
	.p2alignl 6, 3214868480
	.fill 48, 4, 3214868480
	.type	__hip_cuid_9b27f27e15cf024c,@object ; @__hip_cuid_9b27f27e15cf024c
	.section	.bss,"aw",@nobits
	.globl	__hip_cuid_9b27f27e15cf024c
__hip_cuid_9b27f27e15cf024c:
	.byte	0                               ; 0x0
	.size	__hip_cuid_9b27f27e15cf024c, 1

	.ident	"AMD clang version 19.0.0git (https://github.com/RadeonOpenCompute/llvm-project roc-6.4.0 25133 c7fe45cf4b819c5991fe208aaa96edf142730f1d)"
	.section	".note.GNU-stack","",@progbits
	.addrsig
	.addrsig_sym __hip_cuid_9b27f27e15cf024c
	.amdgpu_metadata
---
amdhsa.kernels:
  - .args:
      - .actual_access:  read_only
        .address_space:  global
        .offset:         0
        .size:           8
        .value_kind:     global_buffer
      - .offset:         8
        .size:           8
        .value_kind:     by_value
      - .actual_access:  read_only
        .address_space:  global
        .offset:         16
        .size:           8
        .value_kind:     global_buffer
      - .actual_access:  read_only
        .address_space:  global
        .offset:         24
        .size:           8
        .value_kind:     global_buffer
      - .actual_access:  read_only
        .address_space:  global
        .offset:         32
        .size:           8
        .value_kind:     global_buffer
      - .offset:         40
        .size:           8
        .value_kind:     by_value
      - .actual_access:  read_only
        .address_space:  global
        .offset:         48
        .size:           8
        .value_kind:     global_buffer
      - .actual_access:  read_only
        .address_space:  global
        .offset:         56
        .size:           8
        .value_kind:     global_buffer
      - .offset:         64
        .size:           4
        .value_kind:     by_value
      - .actual_access:  read_only
        .address_space:  global
        .offset:         72
        .size:           8
        .value_kind:     global_buffer
      - .actual_access:  read_only
        .address_space:  global
        .offset:         80
        .size:           8
        .value_kind:     global_buffer
      - .actual_access:  read_only
        .address_space:  global
        .offset:         88
        .size:           8
        .value_kind:     global_buffer
      - .actual_access:  write_only
        .address_space:  global
        .offset:         96
        .size:           8
        .value_kind:     global_buffer
    .group_segment_fixed_size: 0
    .kernarg_segment_align: 8
    .kernarg_segment_size: 104
    .language:       OpenCL C
    .language_version:
      - 2
      - 0
    .max_flat_workgroup_size: 100
    .name:           fft_rtc_back_len100_factors_5_5_4_wgs_100_tpt_25_half_op_CI_CI_sbrc_xy_z_unaligned_dirReg
    .private_segment_fixed_size: 0
    .sgpr_count:     26
    .sgpr_spill_count: 0
    .symbol:         fft_rtc_back_len100_factors_5_5_4_wgs_100_tpt_25_half_op_CI_CI_sbrc_xy_z_unaligned_dirReg.kd
    .uniform_work_group_size: 1
    .uses_dynamic_stack: false
    .vgpr_count:     32
    .vgpr_spill_count: 0
    .wavefront_size: 32
    .workgroup_processor_mode: 1
amdhsa.target:   amdgcn-amd-amdhsa--gfx1030
amdhsa.version:
  - 1
  - 2
...

	.end_amdgpu_metadata
